;; amdgpu-corpus repo=ROCm/rocFFT kind=compiled arch=gfx906 opt=O3
	.text
	.amdgcn_target "amdgcn-amd-amdhsa--gfx906"
	.amdhsa_code_object_version 6
	.protected	fft_rtc_back_len625_factors_5_5_5_5_wgs_125_tpt_125_sp_op_CI_CI_sbrc_aligned_dirReg ; -- Begin function fft_rtc_back_len625_factors_5_5_5_5_wgs_125_tpt_125_sp_op_CI_CI_sbrc_aligned_dirReg
	.globl	fft_rtc_back_len625_factors_5_5_5_5_wgs_125_tpt_125_sp_op_CI_CI_sbrc_aligned_dirReg
	.p2align	8
	.type	fft_rtc_back_len625_factors_5_5_5_5_wgs_125_tpt_125_sp_op_CI_CI_sbrc_aligned_dirReg,@function
fft_rtc_back_len625_factors_5_5_5_5_wgs_125_tpt_125_sp_op_CI_CI_sbrc_aligned_dirReg: ; @fft_rtc_back_len625_factors_5_5_5_5_wgs_125_tpt_125_sp_op_CI_CI_sbrc_aligned_dirReg
; %bb.0:
	s_load_dwordx8 s[8:15], s[4:5], 0x0
	s_mov_b32 s28, 0
	s_mov_b64 s[34:35], 2
	s_mov_b32 s25, s28
	s_waitcnt lgkmcnt(0)
	s_load_dword s7, s[12:13], 0x8
	s_load_dwordx4 s[16:19], s[4:5], 0x58
	s_load_dwordx2 s[26:27], s[4:5], 0x20
	s_load_dwordx4 s[20:23], s[14:15], 0x0
	v_cmp_gt_u64_e64 s[4:5], s[10:11], 2
	s_waitcnt lgkmcnt(0)
	v_cvt_f32_u32_e32 v1, s7
	s_load_dwordx4 s[0:3], s[26:27], 0x0
	s_waitcnt lgkmcnt(0)
	s_sub_i32 s3, 0, s7
	v_rcp_iflag_f32_e32 v1, v1
	v_mul_f32_e32 v1, 0x4f7ffffe, v1
	v_cvt_u32_f32_e32 v1, v1
	v_readfirstlane_b32 s23, v1
	s_mul_i32 s3, s3, s23
	s_mul_hi_u32 s3, s23, s3
	s_add_i32 s23, s23, s3
	s_mul_hi_u32 s3, s6, s23
	s_mul_i32 s23, s3, s7
	s_sub_i32 s23, s6, s23
	s_add_i32 s24, s3, 1
	s_sub_i32 s29, s23, s7
	s_cmp_ge_u32 s23, s7
	s_cselect_b32 s3, s24, s3
	s_cselect_b32 s23, s29, s23
	s_add_i32 s24, s3, 1
	s_cmp_ge_u32 s23, s7
	s_cselect_b32 s3, s24, s3
	s_and_b64 vcc, exec, s[4:5]
	s_mul_i32 s4, s3, s7
	s_sub_i32 s4, s6, s4
	s_mul_i32 s1, s1, s4
	s_mul_hi_u32 s5, s0, s4
	s_mul_i32 s24, s4, s22
	s_mul_i32 s4, s0, s4
	s_add_i32 s5, s5, s1
	s_cbranch_vccz .LBB0_9
; %bb.1:
	v_mov_b32_e32 v1, s10
	s_mov_b32 s30, 3
	v_mov_b32_e32 v2, s11
.LBB0_2:                                ; =>This Inner Loop Header: Depth=1
	s_lshl_b64 s[34:35], s[34:35], 3
	s_add_u32 s0, s12, s34
	s_addc_u32 s1, s13, s35
	s_load_dwordx2 s[36:37], s[0:1], 0x0
	s_waitcnt lgkmcnt(0)
	s_mov_b32 s29, s37
	s_cmp_lg_u64 s[28:29], 0
	s_cbranch_scc0 .LBB0_7
; %bb.3:                                ;   in Loop: Header=BB0_2 Depth=1
	v_cvt_f32_u32_e32 v3, s36
	v_cvt_f32_u32_e32 v4, s37
	s_sub_u32 s0, 0, s36
	s_subb_u32 s1, 0, s37
	v_mac_f32_e32 v3, 0x4f800000, v4
	v_rcp_f32_e32 v3, v3
	v_mul_f32_e32 v3, 0x5f7ffffc, v3
	v_mul_f32_e32 v4, 0x2f800000, v3
	v_trunc_f32_e32 v4, v4
	v_mac_f32_e32 v3, 0xcf800000, v4
	v_cvt_u32_f32_e32 v4, v4
	v_cvt_u32_f32_e32 v3, v3
	v_readfirstlane_b32 s23, v4
	v_readfirstlane_b32 s29, v3
	s_mul_i32 s31, s0, s23
	s_mul_hi_u32 s38, s0, s29
	s_mul_i32 s33, s1, s29
	s_add_i32 s31, s38, s31
	s_mul_i32 s39, s0, s29
	s_add_i32 s31, s31, s33
	s_mul_hi_u32 s33, s29, s31
	s_mul_i32 s38, s29, s31
	s_mul_hi_u32 s29, s29, s39
	s_add_u32 s29, s29, s38
	s_addc_u32 s33, 0, s33
	s_mul_hi_u32 s40, s23, s39
	s_mul_i32 s39, s23, s39
	s_add_u32 s29, s29, s39
	s_mul_hi_u32 s38, s23, s31
	s_addc_u32 s29, s33, s40
	s_addc_u32 s33, s38, 0
	s_mul_i32 s31, s23, s31
	s_add_u32 s29, s29, s31
	s_addc_u32 s31, 0, s33
	v_add_co_u32_e32 v3, vcc, s29, v3
	s_cmp_lg_u64 vcc, 0
	s_addc_u32 s23, s23, s31
	v_readfirstlane_b32 s31, v3
	s_mul_i32 s29, s0, s23
	s_mul_hi_u32 s33, s0, s31
	s_add_i32 s29, s33, s29
	s_mul_i32 s1, s1, s31
	s_add_i32 s29, s29, s1
	s_mul_i32 s0, s0, s31
	s_mul_hi_u32 s33, s23, s0
	s_mul_i32 s38, s23, s0
	s_mul_i32 s40, s31, s29
	s_mul_hi_u32 s0, s31, s0
	s_mul_hi_u32 s39, s31, s29
	s_add_u32 s0, s0, s40
	s_addc_u32 s31, 0, s39
	s_add_u32 s0, s0, s38
	s_mul_hi_u32 s1, s23, s29
	s_addc_u32 s0, s31, s33
	s_addc_u32 s1, s1, 0
	s_mul_i32 s29, s23, s29
	s_add_u32 s0, s0, s29
	s_addc_u32 s1, 0, s1
	v_add_co_u32_e32 v3, vcc, s0, v3
	s_cmp_lg_u64 vcc, 0
	s_addc_u32 s0, s23, s1
	v_readfirstlane_b32 s23, v3
	s_mul_hi_u32 s1, s3, s0
	s_mul_i32 s0, s3, s0
	s_mul_hi_u32 s23, s3, s23
	s_add_u32 s0, s23, s0
	s_addc_u32 s23, 0, s1
	s_mul_i32 s0, s37, s23
	s_mul_hi_u32 s1, s36, s23
	s_add_i32 s29, s1, s0
	s_mul_i32 s1, s36, s23
	v_mov_b32_e32 v3, s1
	s_sub_i32 s0, 0, s29
	v_sub_co_u32_e32 v3, vcc, s3, v3
	s_cmp_lg_u64 vcc, 0
	s_subb_u32 s31, s0, s37
	v_subrev_co_u32_e64 v4, s[0:1], s36, v3
	s_cmp_lg_u64 s[0:1], 0
	s_subb_u32 s0, s31, 0
	s_cmp_ge_u32 s0, s37
	v_readfirstlane_b32 s31, v4
	s_cselect_b32 s1, -1, 0
	s_cmp_ge_u32 s31, s36
	s_cselect_b32 s31, -1, 0
	s_cmp_eq_u32 s0, s37
	s_cselect_b32 s0, s31, s1
	s_add_u32 s1, s23, 1
	s_addc_u32 s31, 0, 0
	s_add_u32 s33, s23, 2
	s_addc_u32 s38, 0, 0
	s_cmp_lg_u32 s0, 0
	s_cselect_b32 s0, s33, s1
	s_cselect_b32 s1, s38, s31
	s_cmp_lg_u64 vcc, 0
	s_subb_u32 s29, 0, s29
	s_cmp_ge_u32 s29, s37
	v_readfirstlane_b32 s33, v3
	s_cselect_b32 s31, -1, 0
	s_cmp_ge_u32 s33, s36
	s_cselect_b32 s33, -1, 0
	s_cmp_eq_u32 s29, s37
	s_cselect_b32 s29, s33, s31
	s_cmp_lg_u32 s29, 0
	s_cselect_b32 s1, s1, 0
	s_cselect_b32 s0, s0, s23
	s_cbranch_execnz .LBB0_5
.LBB0_4:                                ;   in Loop: Header=BB0_2 Depth=1
	v_cvt_f32_u32_e32 v3, s36
	s_sub_i32 s0, 0, s36
	v_rcp_iflag_f32_e32 v3, v3
	v_mul_f32_e32 v3, 0x4f7ffffe, v3
	v_cvt_u32_f32_e32 v3, v3
	v_readfirstlane_b32 s1, v3
	s_mul_i32 s0, s0, s1
	s_mul_hi_u32 s0, s1, s0
	s_add_i32 s1, s1, s0
	s_mul_hi_u32 s0, s3, s1
	s_mul_i32 s23, s0, s36
	s_sub_i32 s23, s3, s23
	s_add_i32 s1, s0, 1
	s_sub_i32 s29, s23, s36
	s_cmp_ge_u32 s23, s36
	s_cselect_b32 s0, s1, s0
	s_cselect_b32 s23, s29, s23
	s_add_i32 s1, s0, 1
	s_cmp_ge_u32 s23, s36
	s_cselect_b32 s0, s1, s0
	s_mov_b32 s1, s28
.LBB0_5:                                ;   in Loop: Header=BB0_2 Depth=1
	s_mul_i32 s23, s0, s37
	s_mul_hi_u32 s29, s0, s36
	s_add_i32 s23, s29, s23
	s_mul_i32 s1, s1, s36
	s_add_i32 s23, s23, s1
	s_mul_i32 s1, s0, s36
	s_sub_u32 s1, s3, s1
	s_subb_u32 s3, 0, s23
	s_add_u32 s38, s14, s34
	s_addc_u32 s39, s15, s35
	s_load_dwordx2 s[38:39], s[38:39], 0x0
	s_mov_b32 s31, s28
	v_cmp_ge_u64_e32 vcc, s[30:31], v[1:2]
	s_mul_i32 s7, s7, s36
	s_waitcnt lgkmcnt(0)
	s_mul_i32 s23, s38, s3
	s_mul_hi_u32 s29, s38, s1
	s_add_i32 s23, s29, s23
	s_mul_i32 s29, s39, s1
	s_add_i32 s23, s23, s29
	s_mul_i32 s29, s38, s1
	s_add_u32 s24, s29, s24
	s_addc_u32 s25, s23, s25
	s_add_u32 s34, s26, s34
	s_addc_u32 s35, s27, s35
	s_load_dwordx2 s[34:35], s[34:35], 0x0
	s_waitcnt lgkmcnt(0)
	s_mul_i32 s3, s34, s3
	s_mul_hi_u32 s23, s34, s1
	s_add_i32 s3, s23, s3
	s_mul_i32 s23, s35, s1
	s_add_i32 s3, s3, s23
	s_mul_i32 s1, s34, s1
	s_add_u32 s4, s1, s4
	s_addc_u32 s5, s3, s5
	s_mov_b64 s[34:35], s[30:31]
	s_add_i32 s30, s30, 1
	s_cbranch_vccnz .LBB0_8
; %bb.6:                                ;   in Loop: Header=BB0_2 Depth=1
	s_mov_b32 s3, s0
	s_branch .LBB0_2
.LBB0_7:                                ;   in Loop: Header=BB0_2 Depth=1
                                        ; implicit-def: $sgpr0_sgpr1
	s_branch .LBB0_4
.LBB0_8:
	v_cvt_f32_u32_e32 v1, s7
	s_sub_i32 s0, 0, s7
	v_rcp_iflag_f32_e32 v1, v1
	v_mul_f32_e32 v1, 0x4f7ffffe, v1
	v_cvt_u32_f32_e32 v1, v1
	v_readfirstlane_b32 s1, v1
	s_mul_i32 s0, s0, s1
	s_mul_hi_u32 s0, s1, s0
	s_add_i32 s1, s1, s0
	s_mul_hi_u32 s0, s6, s1
	s_mul_i32 s1, s0, s7
	s_sub_i32 s1, s6, s1
	s_add_i32 s3, s0, 1
	s_sub_i32 s6, s1, s7
	s_cmp_ge_u32 s1, s7
	s_cselect_b32 s0, s3, s0
	s_cselect_b32 s1, s6, s1
	s_add_i32 s3, s0, 1
	s_cmp_ge_u32 s1, s7
	s_cselect_b32 s3, s3, s0
.LBB0_9:
	s_lshl_b64 s[0:1], s[10:11], 3
	s_add_u32 s6, s14, s0
	s_addc_u32 s7, s15, s1
	s_load_dwordx2 s[6:7], s[6:7], 0x0
	s_movk_i32 s10, 0x271
	v_add_u32_e32 v1, 0xfffffd8f, v0
	v_cmp_gt_u32_e32 vcc, s10, v0
	v_cndmask_b32_e32 v21, v1, v0, vcc
	s_waitcnt lgkmcnt(0)
	s_mul_i32 s7, s7, s3
	s_mul_hi_u32 s11, s6, s3
	s_add_i32 s7, s11, s7
	s_add_u32 s0, s26, s0
	v_mad_u64_u32 v[3:4], s[10:11], s20, v21, 0
	s_addc_u32 s1, s27, s1
	s_load_dwordx2 s[0:1], s[0:1], 0x0
	v_mov_b32_e32 v1, v4
	v_mad_u64_u32 v[1:2], s[10:11], s21, v21, v[1:2]
	s_mul_i32 s6, s6, s3
	s_waitcnt lgkmcnt(0)
	s_mul_i32 s1, s1, s3
	s_mul_hi_u32 s10, s0, s3
	s_add_i32 s1, s10, s1
	s_movk_i32 s10, 0x270
	s_lshl_b64 s[6:7], s[6:7], 3
	v_cmp_lt_u32_e32 vcc, s10, v0
	s_add_u32 s10, s16, s6
	s_addc_u32 s11, s17, s7
	s_lshl_b64 s[6:7], s[24:25], 3
	v_mov_b32_e32 v8, s22
	s_add_u32 s12, s10, s6
	s_movk_i32 s6, 0x1f4
	v_mov_b32_e32 v4, v1
	v_cndmask_b32_e64 v22, 0, 1, vcc
	v_cndmask_b32_e32 v1, 0, v8, vcc
	v_mov_b32_e32 v5, 0xfffffe0c
	v_mov_b32_e32 v6, 0x7d
	v_cmp_gt_u32_e32 vcc, s6, v0
	v_cndmask_b32_e32 v5, v5, v6, vcc
	v_add_u32_e32 v23, v5, v0
	s_addc_u32 s7, s11, s7
	v_mad_u64_u32 v[5:6], s[10:11], s20, v23, 0
	v_lshlrev_b64 v[3:4], 3, v[3:4]
	v_mov_b32_e32 v2, 0
	v_mov_b32_e32 v7, s7
	v_add_co_u32_e32 v9, vcc, s12, v3
	v_addc_co_u32_e32 v10, vcc, v7, v4, vcc
	v_lshlrev_b64 v[3:4], 3, v[1:2]
	v_mov_b32_e32 v1, v6
	v_mad_u64_u32 v[6:7], s[10:11], s21, v23, v[1:2]
	v_add_co_u32_e32 v3, vcc, v9, v3
	v_addc_co_u32_e32 v4, vcc, v10, v4, vcc
	s_movk_i32 s10, 0x1f3
	v_lshlrev_b64 v[5:6], 3, v[5:6]
	v_cmp_lt_u32_e32 vcc, s10, v0
	v_cndmask_b32_e64 v24, 0, 1, vcc
	v_cndmask_b32_e32 v1, 0, v8, vcc
	v_mov_b32_e32 v7, s7
	v_add_co_u32_e32 v9, vcc, s12, v5
	v_add_u16_e32 v25, 0xfa, v0
	v_addc_co_u32_e32 v10, vcc, v7, v6, vcc
	v_mad_u64_u32 v[7:8], s[10:11], s20, v25, 0
	v_lshlrev_b64 v[5:6], 3, v[1:2]
	v_add_u16_e32 v26, 0x177, v0
	v_mov_b32_e32 v1, v8
	v_add_co_u32_e32 v5, vcc, v9, v5
	v_mad_u64_u32 v[8:9], s[10:11], s21, v25, v[1:2]
	v_addc_co_u32_e32 v6, vcc, v10, v6, vcc
	v_mad_u64_u32 v[9:10], s[10:11], s20, v26, 0
	v_lshlrev_b64 v[7:8], 3, v[7:8]
	v_mov_b32_e32 v12, s7
	v_mov_b32_e32 v1, v10
	v_mad_u64_u32 v[10:11], s[10:11], s21, v26, v[1:2]
	v_add_co_u32_e32 v7, vcc, s12, v7
	v_add_u16_e32 v11, 0x1f4, v0
	v_addc_co_u32_e32 v8, vcc, v12, v8, vcc
	v_mul_u32_u24_e32 v12, 0x69, v11
	v_lshrrev_b32_e32 v27, 16, v12
	v_mul_lo_u16_e32 v12, 0x271, v27
	v_sub_u16_e32 v28, v11, v12
	v_mad_u64_u32 v[11:12], s[10:11], s20, v28, 0
	v_lshlrev_b64 v[9:10], 3, v[9:10]
	v_mov_b32_e32 v1, s7
	v_add_co_u32_e32 v9, vcc, s12, v9
	v_addc_co_u32_e32 v10, vcc, v1, v10, vcc
	v_mov_b32_e32 v1, v12
	v_mad_u64_u32 v[12:13], s[10:11], s21, v28, v[1:2]
	v_mul_lo_u32 v1, s22, v27
	global_load_dwordx2 v[13:14], v[3:4], off
	global_load_dwordx2 v[15:16], v[5:6], off
	;; [unrolled: 1-line block ×4, first 2 shown]
	v_lshlrev_b64 v[3:4], 3, v[11:12]
	v_mov_b32_e32 v5, s7
	v_add_co_u32_e32 v6, vcc, s12, v3
	v_addc_co_u32_e32 v5, vcc, v5, v4, vcc
	v_lshlrev_b64 v[3:4], 3, v[1:2]
	v_lshlrev_b32_e32 v1, 3, v21
	v_add_co_u32_e32 v3, vcc, v6, v3
	v_addc_co_u32_e32 v4, vcc, v5, v4, vcc
	global_load_dwordx2 v[3:4], v[3:4], off
	v_lshlrev_b32_e32 v5, 3, v22
	v_add3_u32 v1, 0, v1, v5
	v_lshlrev_b32_e32 v5, 3, v24
	s_movk_i32 s7, 0xc8
	s_movk_i32 s10, 0x3e8
	s_mul_i32 s0, s0, s3
	s_lshl_b64 s[0:1], s[0:1], 3
	s_add_u32 s3, s18, s0
	s_waitcnt vmcnt(4)
	ds_write_b64 v1, v[13:14]
	v_lshlrev_b32_e32 v1, 3, v23
	v_add3_u32 v1, 0, v1, v5
	s_waitcnt vmcnt(3)
	ds_write_b64 v1, v[15:16]
	v_lshl_add_u32 v1, v25, 3, 0
	s_waitcnt vmcnt(2)
	ds_write_b64 v1, v[17:18]
	v_lshl_add_u32 v1, v26, 3, 0
	s_waitcnt vmcnt(1)
	ds_write_b64 v1, v[19:20]
	v_add_u16_e32 v1, v28, v27
	v_lshl_add_u32 v1, v1, 3, 0
	s_waitcnt vmcnt(0)
	ds_write_b64 v1, v[3:4]
	v_lshl_add_u32 v1, v0, 3, 0
	v_add_u32_e32 v7, 0x400, v1
	s_waitcnt lgkmcnt(0)
	s_barrier
	ds_read2_b64 v[3:6], v1 offset1:125
	ds_read2_b64 v[7:10], v7 offset0:122 offset1:247
	ds_read_b64 v[11:12], v1 offset:4000
	s_waitcnt lgkmcnt(0)
	s_barrier
	v_add_f32_e32 v14, v7, v9
	v_fma_f32 v15, -0.5, v14, v3
	v_sub_f32_e32 v14, v6, v12
	v_mov_b32_e32 v17, v15
	v_fmac_f32_e32 v17, 0xbf737871, v14
	v_sub_f32_e32 v16, v8, v10
	v_sub_f32_e32 v18, v5, v7
	;; [unrolled: 1-line block ×3, first 2 shown]
	v_fmac_f32_e32 v15, 0x3f737871, v14
	v_fmac_f32_e32 v17, 0xbf167918, v16
	v_add_f32_e32 v18, v18, v19
	v_fmac_f32_e32 v15, 0x3f167918, v16
	v_fmac_f32_e32 v17, 0x3e9e377a, v18
	;; [unrolled: 1-line block ×3, first 2 shown]
	v_add_f32_e32 v18, v5, v11
	v_add_f32_e32 v13, v3, v5
	v_fma_f32 v3, -0.5, v18, v3
	v_mov_b32_e32 v19, v3
	v_fmac_f32_e32 v19, 0x3f737871, v16
	v_sub_f32_e32 v18, v7, v5
	v_sub_f32_e32 v20, v9, v11
	v_fmac_f32_e32 v3, 0xbf737871, v16
	v_add_f32_e32 v16, v8, v10
	v_add_f32_e32 v13, v13, v7
	v_fmac_f32_e32 v19, 0xbf167918, v14
	v_add_f32_e32 v18, v18, v20
	v_fmac_f32_e32 v3, 0x3f167918, v14
	v_fma_f32 v16, -0.5, v16, v4
	v_add_f32_e32 v13, v13, v9
	v_fmac_f32_e32 v19, 0x3e9e377a, v18
	v_fmac_f32_e32 v3, 0x3e9e377a, v18
	v_sub_f32_e32 v5, v5, v11
	v_mov_b32_e32 v18, v16
	v_add_f32_e32 v13, v13, v11
	v_fmac_f32_e32 v18, 0x3f737871, v5
	v_sub_f32_e32 v7, v7, v9
	v_sub_f32_e32 v9, v6, v8
	v_sub_f32_e32 v11, v12, v10
	v_fmac_f32_e32 v16, 0xbf737871, v5
	v_fmac_f32_e32 v18, 0x3f167918, v7
	v_add_f32_e32 v9, v9, v11
	v_fmac_f32_e32 v16, 0xbf167918, v7
	v_fmac_f32_e32 v18, 0x3e9e377a, v9
	;; [unrolled: 1-line block ×3, first 2 shown]
	v_add_f32_e32 v9, v6, v12
	v_add_f32_e32 v14, v4, v6
	v_fma_f32 v4, -0.5, v9, v4
	v_add_f32_e32 v14, v14, v8
	v_mov_b32_e32 v20, v4
	v_add_f32_e32 v14, v14, v10
	v_fmac_f32_e32 v20, 0xbf737871, v7
	v_sub_f32_e32 v6, v8, v6
	v_sub_f32_e32 v8, v10, v12
	v_fmac_f32_e32 v4, 0x3f737871, v7
	v_add_f32_e32 v14, v14, v12
	v_fmac_f32_e32 v20, 0x3f167918, v5
	v_add_f32_e32 v6, v6, v8
	v_fmac_f32_e32 v4, 0xbf167918, v5
	v_lshl_add_u32 v5, v0, 5, v1
	v_fmac_f32_e32 v20, 0x3e9e377a, v6
	v_fmac_f32_e32 v4, 0x3e9e377a, v6
	ds_write2_b64 v5, v[13:14], v[17:18] offset1:1
	ds_write2_b64 v5, v[19:20], v[3:4] offset0:2 offset1:3
	ds_write_b64 v5, v[15:16] offset:32
	v_mul_u32_u24_e32 v19, 0x3334, v0
	v_mov_b32_e32 v3, 5
	v_mul_lo_u16_sdwa v3, v19, v3 dst_sel:DWORD dst_unused:UNUSED_PAD src0_sel:WORD_1 src1_sel:DWORD
	v_sub_u16_e32 v20, v0, v3
	v_lshlrev_b32_e32 v11, 5, v20
	s_waitcnt lgkmcnt(0)
	s_barrier
	global_load_dwordx4 v[3:6], v11, s[8:9]
	global_load_dwordx4 v[7:10], v11, s[8:9] offset:16
	ds_read2_b64 v[11:14], v1 offset0:125 offset1:250
	v_add_u32_e32 v21, 0x800, v1
	ds_read2_b64 v[15:18], v21 offset0:119 offset1:244
	s_waitcnt vmcnt(1) lgkmcnt(1)
	v_mul_f32_e32 v22, v4, v12
	v_mul_f32_e32 v4, v4, v11
	v_fmac_f32_e32 v22, v3, v11
	v_fma_f32 v23, v3, v12, -v4
	v_mul_f32_e32 v12, v6, v14
	v_mul_f32_e32 v3, v6, v13
	v_fmac_f32_e32 v12, v5, v13
	v_fma_f32 v13, v5, v14, -v3
	ds_read2_b32 v[3:4], v1 offset1:1
	s_waitcnt vmcnt(0) lgkmcnt(1)
	v_mul_f32_e32 v14, v8, v16
	v_fmac_f32_e32 v14, v7, v15
	v_mul_f32_e32 v5, v8, v15
	v_fma_f32 v15, v7, v16, -v5
	v_mul_f32_e32 v16, v10, v18
	v_mul_f32_e32 v5, v10, v17
	v_add_f32_e32 v6, v12, v14
	v_fmac_f32_e32 v16, v9, v17
	v_fma_f32 v17, v9, v18, -v5
	s_waitcnt lgkmcnt(0)
	v_fma_f32 v7, -0.5, v6, v3
	v_sub_f32_e32 v6, v23, v17
	v_mov_b32_e32 v9, v7
	v_fmac_f32_e32 v9, 0xbf737871, v6
	v_sub_f32_e32 v8, v13, v15
	v_sub_f32_e32 v10, v22, v12
	;; [unrolled: 1-line block ×3, first 2 shown]
	v_fmac_f32_e32 v7, 0x3f737871, v6
	v_fmac_f32_e32 v9, 0xbf167918, v8
	v_add_f32_e32 v10, v10, v11
	v_fmac_f32_e32 v7, 0x3f167918, v8
	v_fmac_f32_e32 v9, 0x3e9e377a, v10
	;; [unrolled: 1-line block ×3, first 2 shown]
	v_add_f32_e32 v10, v22, v16
	v_add_f32_e32 v5, v22, v3
	v_fma_f32 v3, -0.5, v10, v3
	v_sub_f32_e32 v10, v12, v22
	v_sub_f32_e32 v11, v14, v16
	v_add_f32_e32 v10, v10, v11
	v_mov_b32_e32 v11, v3
	v_add_f32_e32 v5, v5, v12
	v_fmac_f32_e32 v11, 0x3f737871, v8
	v_fmac_f32_e32 v3, 0xbf737871, v8
	v_add_f32_e32 v8, v13, v15
	v_add_f32_e32 v5, v5, v14
	v_fmac_f32_e32 v11, 0xbf167918, v6
	v_fmac_f32_e32 v3, 0x3f167918, v6
	v_fma_f32 v8, -0.5, v8, v4
	v_add_f32_e32 v5, v5, v16
	v_fmac_f32_e32 v11, 0x3e9e377a, v10
	v_fmac_f32_e32 v3, 0x3e9e377a, v10
	v_sub_f32_e32 v16, v22, v16
	v_mov_b32_e32 v10, v8
	v_fmac_f32_e32 v10, 0x3f737871, v16
	v_sub_f32_e32 v14, v12, v14
	v_sub_f32_e32 v12, v23, v13
	;; [unrolled: 1-line block ×3, first 2 shown]
	v_fmac_f32_e32 v8, 0xbf737871, v16
	v_fmac_f32_e32 v10, 0x3f167918, v14
	v_add_f32_e32 v12, v12, v18
	v_fmac_f32_e32 v8, 0xbf167918, v14
	v_fmac_f32_e32 v10, 0x3e9e377a, v12
	;; [unrolled: 1-line block ×3, first 2 shown]
	v_add_f32_e32 v12, v23, v17
	v_add_f32_e32 v6, v4, v23
	v_fmac_f32_e32 v4, -0.5, v12
	v_add_f32_e32 v6, v6, v13
	v_mov_b32_e32 v12, v4
	v_add_f32_e32 v6, v6, v15
	v_fmac_f32_e32 v12, 0xbf737871, v14
	v_sub_f32_e32 v13, v13, v23
	v_sub_f32_e32 v15, v15, v17
	v_fmac_f32_e32 v4, 0x3f737871, v14
	v_fmac_f32_e32 v12, 0x3f167918, v16
	v_add_f32_e32 v13, v13, v15
	v_fmac_f32_e32 v4, 0xbf167918, v16
	v_fmac_f32_e32 v12, 0x3e9e377a, v13
	;; [unrolled: 1-line block ×3, first 2 shown]
	v_mul_u32_u24_sdwa v13, v19, s7 dst_sel:DWORD dst_unused:UNUSED_PAD src0_sel:WORD_1 src1_sel:DWORD
	v_lshlrev_b32_e32 v14, 3, v20
	v_add_f32_e32 v6, v6, v17
	v_add3_u32 v13, 0, v13, v14
	s_barrier
	ds_write2_b64 v13, v[5:6], v[9:10] offset1:5
	ds_write2_b64 v13, v[11:12], v[3:4] offset0:10 offset1:15
	ds_write_b64 v13, v[7:8] offset:160
	v_mul_u32_u24_e32 v19, 0xa3e, v0
	v_mov_b32_e32 v3, 25
	v_mul_lo_u16_sdwa v3, v19, v3 dst_sel:DWORD dst_unused:UNUSED_PAD src0_sel:WORD_1 src1_sel:DWORD
	v_sub_u16_e32 v20, v0, v3
	v_lshlrev_b32_e32 v11, 5, v20
	s_waitcnt lgkmcnt(0)
	s_barrier
	global_load_dwordx4 v[3:6], v11, s[8:9] offset:160
	global_load_dwordx4 v[7:10], v11, s[8:9] offset:176
	ds_read2_b64 v[11:14], v1 offset0:125 offset1:250
	ds_read2_b64 v[15:18], v21 offset0:119 offset1:244
	s_movk_i32 s7, 0x7d
	s_waitcnt vmcnt(1) lgkmcnt(1)
	v_mul_f32_e32 v22, v4, v12
	v_mul_f32_e32 v4, v4, v11
	v_fmac_f32_e32 v22, v3, v11
	v_fma_f32 v23, v3, v12, -v4
	v_mul_f32_e32 v12, v6, v14
	v_mul_f32_e32 v3, v6, v13
	v_fmac_f32_e32 v12, v5, v13
	v_fma_f32 v13, v5, v14, -v3
	ds_read2_b32 v[3:4], v1 offset1:1
	s_waitcnt vmcnt(0) lgkmcnt(1)
	v_mul_f32_e32 v14, v8, v16
	v_fmac_f32_e32 v14, v7, v15
	v_mul_f32_e32 v5, v8, v15
	v_fma_f32 v15, v7, v16, -v5
	v_mul_f32_e32 v16, v10, v18
	v_mul_f32_e32 v5, v10, v17
	v_add_f32_e32 v6, v12, v14
	v_fmac_f32_e32 v16, v9, v17
	v_fma_f32 v17, v9, v18, -v5
	s_waitcnt lgkmcnt(0)
	v_fma_f32 v7, -0.5, v6, v3
	v_sub_f32_e32 v6, v23, v17
	v_mov_b32_e32 v9, v7
	v_fmac_f32_e32 v9, 0xbf737871, v6
	v_sub_f32_e32 v8, v13, v15
	v_sub_f32_e32 v10, v22, v12
	;; [unrolled: 1-line block ×3, first 2 shown]
	v_fmac_f32_e32 v7, 0x3f737871, v6
	v_fmac_f32_e32 v9, 0xbf167918, v8
	v_add_f32_e32 v10, v10, v11
	v_fmac_f32_e32 v7, 0x3f167918, v8
	v_fmac_f32_e32 v9, 0x3e9e377a, v10
	;; [unrolled: 1-line block ×3, first 2 shown]
	v_add_f32_e32 v10, v22, v16
	v_add_f32_e32 v5, v22, v3
	v_fma_f32 v3, -0.5, v10, v3
	v_sub_f32_e32 v10, v12, v22
	v_sub_f32_e32 v11, v14, v16
	v_add_f32_e32 v10, v10, v11
	v_mov_b32_e32 v11, v3
	v_add_f32_e32 v5, v5, v12
	v_fmac_f32_e32 v11, 0x3f737871, v8
	v_fmac_f32_e32 v3, 0xbf737871, v8
	v_add_f32_e32 v8, v13, v15
	v_add_f32_e32 v5, v5, v14
	v_fmac_f32_e32 v11, 0xbf167918, v6
	v_fmac_f32_e32 v3, 0x3f167918, v6
	v_fma_f32 v8, -0.5, v8, v4
	v_add_f32_e32 v5, v5, v16
	v_fmac_f32_e32 v11, 0x3e9e377a, v10
	v_fmac_f32_e32 v3, 0x3e9e377a, v10
	v_sub_f32_e32 v16, v22, v16
	v_mov_b32_e32 v10, v8
	v_fmac_f32_e32 v10, 0x3f737871, v16
	v_sub_f32_e32 v14, v12, v14
	v_sub_f32_e32 v12, v23, v13
	;; [unrolled: 1-line block ×3, first 2 shown]
	v_fmac_f32_e32 v8, 0xbf737871, v16
	v_fmac_f32_e32 v10, 0x3f167918, v14
	v_add_f32_e32 v12, v12, v18
	v_fmac_f32_e32 v8, 0xbf167918, v14
	v_fmac_f32_e32 v10, 0x3e9e377a, v12
	;; [unrolled: 1-line block ×3, first 2 shown]
	v_add_f32_e32 v12, v23, v17
	v_add_f32_e32 v6, v4, v23
	v_fmac_f32_e32 v4, -0.5, v12
	v_add_f32_e32 v6, v6, v13
	v_mov_b32_e32 v12, v4
	v_add_f32_e32 v6, v6, v15
	v_fmac_f32_e32 v12, 0xbf737871, v14
	v_sub_f32_e32 v13, v13, v23
	v_sub_f32_e32 v15, v15, v17
	v_fmac_f32_e32 v4, 0x3f737871, v14
	v_fmac_f32_e32 v12, 0x3f167918, v16
	v_add_f32_e32 v13, v13, v15
	v_fmac_f32_e32 v4, 0xbf167918, v16
	v_fmac_f32_e32 v12, 0x3e9e377a, v13
	;; [unrolled: 1-line block ×3, first 2 shown]
	v_mul_u32_u24_sdwa v13, v19, s10 dst_sel:DWORD dst_unused:UNUSED_PAD src0_sel:WORD_1 src1_sel:DWORD
	v_lshlrev_b32_e32 v14, 3, v20
	v_add_f32_e32 v6, v6, v17
	v_add3_u32 v13, 0, v13, v14
	v_mul_u32_u24_e32 v22, 0x20d, v0
	s_barrier
	ds_write2_b64 v13, v[5:6], v[9:10] offset1:25
	ds_write2_b64 v13, v[11:12], v[3:4] offset0:50 offset1:75
	ds_write_b64 v13, v[7:8] offset:800
	v_mul_lo_u16_sdwa v3, v22, s7 dst_sel:DWORD dst_unused:UNUSED_PAD src0_sel:WORD_1 src1_sel:DWORD
	v_sub_u16_e32 v3, v0, v3
	v_lshlrev_b16_e32 v3, 2, v3
	v_lshlrev_b32_e32 v11, 3, v3
	s_waitcnt lgkmcnt(0)
	s_barrier
	global_load_dwordx4 v[3:6], v11, s[8:9] offset:960
	global_load_dwordx4 v[7:10], v11, s[8:9] offset:976
	ds_read2_b64 v[11:14], v1 offset0:125 offset1:250
	ds_read2_b32 v[19:20], v1 offset1:1
	ds_read2_b64 v[15:18], v21 offset0:119 offset1:244
	s_waitcnt vmcnt(1) lgkmcnt(2)
	v_mul_f32_e32 v1, v4, v12
	v_mul_f32_e32 v4, v4, v11
	v_fmac_f32_e32 v1, v3, v11
	v_fma_f32 v11, v3, v12, -v4
	v_mul_f32_e32 v12, v6, v14
	v_mul_f32_e32 v3, v6, v13
	v_fmac_f32_e32 v12, v5, v13
	v_fma_f32 v13, v5, v14, -v3
	s_waitcnt vmcnt(0) lgkmcnt(0)
	v_mul_f32_e32 v14, v8, v16
	v_fmac_f32_e32 v14, v7, v15
	v_mul_f32_e32 v3, v8, v15
	v_fma_f32 v15, v7, v16, -v3
	v_mul_f32_e32 v3, v10, v17
	v_add_f32_e32 v4, v12, v14
	v_mul_f32_e32 v8, v10, v18
	v_fma_f32 v16, v9, v18, -v3
	v_fma_f32 v5, -0.5, v4, v19
	v_fmac_f32_e32 v8, v9, v17
	v_sub_f32_e32 v4, v11, v16
	v_mov_b32_e32 v7, v5
	v_fmac_f32_e32 v7, 0xbf737871, v4
	v_sub_f32_e32 v6, v13, v15
	v_sub_f32_e32 v9, v1, v12
	;; [unrolled: 1-line block ×3, first 2 shown]
	v_fmac_f32_e32 v5, 0x3f737871, v4
	v_fmac_f32_e32 v7, 0xbf167918, v6
	v_add_f32_e32 v9, v9, v10
	v_fmac_f32_e32 v5, 0x3f167918, v6
	v_fmac_f32_e32 v7, 0x3e9e377a, v9
	;; [unrolled: 1-line block ×3, first 2 shown]
	v_add_f32_e32 v9, v1, v8
	v_add_f32_e32 v3, v1, v19
	v_fma_f32 v19, -0.5, v9, v19
	v_mov_b32_e32 v9, v19
	v_add_f32_e32 v3, v3, v12
	v_fmac_f32_e32 v9, 0x3f737871, v6
	v_fmac_f32_e32 v19, 0xbf737871, v6
	v_add_f32_e32 v6, v13, v15
	v_add_f32_e32 v3, v3, v14
	v_sub_f32_e32 v10, v12, v1
	v_sub_f32_e32 v17, v14, v8
	v_fma_f32 v6, -0.5, v6, v20
	v_add_f32_e32 v3, v3, v8
	v_fmac_f32_e32 v9, 0xbf167918, v4
	v_add_f32_e32 v10, v10, v17
	v_fmac_f32_e32 v19, 0x3f167918, v4
	v_sub_f32_e32 v1, v1, v8
	v_mov_b32_e32 v8, v6
	v_fmac_f32_e32 v9, 0x3e9e377a, v10
	v_fmac_f32_e32 v19, 0x3e9e377a, v10
	;; [unrolled: 1-line block ×3, first 2 shown]
	v_sub_f32_e32 v12, v12, v14
	v_sub_f32_e32 v10, v11, v13
	v_sub_f32_e32 v14, v16, v15
	v_fmac_f32_e32 v6, 0xbf737871, v1
	v_fmac_f32_e32 v8, 0x3f167918, v12
	v_add_f32_e32 v10, v10, v14
	v_fmac_f32_e32 v6, 0xbf167918, v12
	v_fmac_f32_e32 v8, 0x3e9e377a, v10
	;; [unrolled: 1-line block ×3, first 2 shown]
	v_add_f32_e32 v10, v11, v16
	v_add_f32_e32 v4, v20, v11
	v_fmac_f32_e32 v20, -0.5, v10
	v_mov_b32_e32 v10, v20
	v_fmac_f32_e32 v10, 0xbf737871, v12
	v_fmac_f32_e32 v20, 0x3f737871, v12
	;; [unrolled: 1-line block ×4, first 2 shown]
	v_mul_lo_u16_sdwa v1, v22, s6 dst_sel:DWORD dst_unused:UNUSED_PAD src0_sel:WORD_1 src1_sel:DWORD
	v_add_u32_e32 v0, v0, v1
	v_mul_lo_u32 v1, v0, s2
	v_add_f32_e32 v4, v4, v13
	v_sub_f32_e32 v11, v13, v11
	v_sub_f32_e32 v13, v15, v16
	v_add_f32_e32 v11, v11, v13
	s_addc_u32 s6, s19, s1
	s_lshl_b64 s[0:1], s[4:5], 3
	v_fmac_f32_e32 v10, 0x3e9e377a, v11
	v_fmac_f32_e32 v20, 0x3e9e377a, v11
	s_add_u32 s0, s3, s0
	v_lshlrev_b64 v[11:12], 3, v[1:2]
	s_addc_u32 s1, s6, s1
	v_add_f32_e32 v4, v4, v15
	v_mov_b32_e32 v0, s1
	v_add_co_u32_e32 v11, vcc, s0, v11
	s_mulk_i32 s2, 0x7d
	v_add_f32_e32 v4, v4, v16
	v_addc_co_u32_e32 v12, vcc, v0, v12, vcc
	v_add_u32_e32 v1, s2, v1
	global_store_dwordx2 v[11:12], v[3:4], off
	v_lshlrev_b64 v[3:4], 3, v[1:2]
	v_add_u32_e32 v1, s2, v1
	v_add_co_u32_e32 v3, vcc, s0, v3
	v_addc_co_u32_e32 v4, vcc, v0, v4, vcc
	global_store_dwordx2 v[3:4], v[7:8], off
	v_lshlrev_b64 v[3:4], 3, v[1:2]
	v_add_u32_e32 v1, s2, v1
	v_add_co_u32_e32 v3, vcc, s0, v3
	v_addc_co_u32_e32 v4, vcc, v0, v4, vcc
	global_store_dwordx2 v[3:4], v[9:10], off
	v_lshlrev_b64 v[3:4], 3, v[1:2]
	v_add_u32_e32 v1, s2, v1
	v_add_co_u32_e32 v3, vcc, s0, v3
	v_addc_co_u32_e32 v4, vcc, v0, v4, vcc
	v_lshlrev_b64 v[0:1], 3, v[1:2]
	v_mov_b32_e32 v2, s1
	v_add_co_u32_e32 v0, vcc, s0, v0
	v_addc_co_u32_e32 v1, vcc, v2, v1, vcc
	global_store_dwordx2 v[3:4], v[19:20], off
	global_store_dwordx2 v[0:1], v[5:6], off
	s_endpgm
	.section	.rodata,"a",@progbits
	.p2align	6, 0x0
	.amdhsa_kernel fft_rtc_back_len625_factors_5_5_5_5_wgs_125_tpt_125_sp_op_CI_CI_sbrc_aligned_dirReg
		.amdhsa_group_segment_fixed_size 0
		.amdhsa_private_segment_fixed_size 0
		.amdhsa_kernarg_size 104
		.amdhsa_user_sgpr_count 6
		.amdhsa_user_sgpr_private_segment_buffer 1
		.amdhsa_user_sgpr_dispatch_ptr 0
		.amdhsa_user_sgpr_queue_ptr 0
		.amdhsa_user_sgpr_kernarg_segment_ptr 1
		.amdhsa_user_sgpr_dispatch_id 0
		.amdhsa_user_sgpr_flat_scratch_init 0
		.amdhsa_user_sgpr_private_segment_size 0
		.amdhsa_uses_dynamic_stack 0
		.amdhsa_system_sgpr_private_segment_wavefront_offset 0
		.amdhsa_system_sgpr_workgroup_id_x 1
		.amdhsa_system_sgpr_workgroup_id_y 0
		.amdhsa_system_sgpr_workgroup_id_z 0
		.amdhsa_system_sgpr_workgroup_info 0
		.amdhsa_system_vgpr_workitem_id 0
		.amdhsa_next_free_vgpr 29
		.amdhsa_next_free_sgpr 41
		.amdhsa_reserve_vcc 1
		.amdhsa_reserve_flat_scratch 0
		.amdhsa_float_round_mode_32 0
		.amdhsa_float_round_mode_16_64 0
		.amdhsa_float_denorm_mode_32 3
		.amdhsa_float_denorm_mode_16_64 3
		.amdhsa_dx10_clamp 1
		.amdhsa_ieee_mode 1
		.amdhsa_fp16_overflow 0
		.amdhsa_exception_fp_ieee_invalid_op 0
		.amdhsa_exception_fp_denorm_src 0
		.amdhsa_exception_fp_ieee_div_zero 0
		.amdhsa_exception_fp_ieee_overflow 0
		.amdhsa_exception_fp_ieee_underflow 0
		.amdhsa_exception_fp_ieee_inexact 0
		.amdhsa_exception_int_div_zero 0
	.end_amdhsa_kernel
	.text
.Lfunc_end0:
	.size	fft_rtc_back_len625_factors_5_5_5_5_wgs_125_tpt_125_sp_op_CI_CI_sbrc_aligned_dirReg, .Lfunc_end0-fft_rtc_back_len625_factors_5_5_5_5_wgs_125_tpt_125_sp_op_CI_CI_sbrc_aligned_dirReg
                                        ; -- End function
	.section	.AMDGPU.csdata,"",@progbits
; Kernel info:
; codeLenInByte = 4000
; NumSgprs: 45
; NumVgprs: 29
; ScratchSize: 0
; MemoryBound: 0
; FloatMode: 240
; IeeeMode: 1
; LDSByteSize: 0 bytes/workgroup (compile time only)
; SGPRBlocks: 5
; VGPRBlocks: 7
; NumSGPRsForWavesPerEU: 45
; NumVGPRsForWavesPerEU: 29
; Occupancy: 8
; WaveLimiterHint : 1
; COMPUTE_PGM_RSRC2:SCRATCH_EN: 0
; COMPUTE_PGM_RSRC2:USER_SGPR: 6
; COMPUTE_PGM_RSRC2:TRAP_HANDLER: 0
; COMPUTE_PGM_RSRC2:TGID_X_EN: 1
; COMPUTE_PGM_RSRC2:TGID_Y_EN: 0
; COMPUTE_PGM_RSRC2:TGID_Z_EN: 0
; COMPUTE_PGM_RSRC2:TIDIG_COMP_CNT: 0
	.type	__hip_cuid_aa11e5e850ad50bf,@object ; @__hip_cuid_aa11e5e850ad50bf
	.section	.bss,"aw",@nobits
	.globl	__hip_cuid_aa11e5e850ad50bf
__hip_cuid_aa11e5e850ad50bf:
	.byte	0                               ; 0x0
	.size	__hip_cuid_aa11e5e850ad50bf, 1

	.ident	"AMD clang version 19.0.0git (https://github.com/RadeonOpenCompute/llvm-project roc-6.4.0 25133 c7fe45cf4b819c5991fe208aaa96edf142730f1d)"
	.section	".note.GNU-stack","",@progbits
	.addrsig
	.addrsig_sym __hip_cuid_aa11e5e850ad50bf
	.amdgpu_metadata
---
amdhsa.kernels:
  - .args:
      - .actual_access:  read_only
        .address_space:  global
        .offset:         0
        .size:           8
        .value_kind:     global_buffer
      - .offset:         8
        .size:           8
        .value_kind:     by_value
      - .actual_access:  read_only
        .address_space:  global
        .offset:         16
        .size:           8
        .value_kind:     global_buffer
      - .actual_access:  read_only
        .address_space:  global
        .offset:         24
        .size:           8
        .value_kind:     global_buffer
      - .actual_access:  read_only
        .address_space:  global
        .offset:         32
        .size:           8
        .value_kind:     global_buffer
      - .offset:         40
        .size:           8
        .value_kind:     by_value
      - .actual_access:  read_only
        .address_space:  global
        .offset:         48
        .size:           8
        .value_kind:     global_buffer
      - .actual_access:  read_only
        .address_space:  global
        .offset:         56
        .size:           8
        .value_kind:     global_buffer
      - .offset:         64
        .size:           4
        .value_kind:     by_value
      - .actual_access:  read_only
        .address_space:  global
        .offset:         72
        .size:           8
        .value_kind:     global_buffer
      - .actual_access:  read_only
        .address_space:  global
        .offset:         80
        .size:           8
        .value_kind:     global_buffer
      - .actual_access:  read_only
        .address_space:  global
        .offset:         88
        .size:           8
        .value_kind:     global_buffer
      - .actual_access:  write_only
        .address_space:  global
        .offset:         96
        .size:           8
        .value_kind:     global_buffer
    .group_segment_fixed_size: 0
    .kernarg_segment_align: 8
    .kernarg_segment_size: 104
    .language:       OpenCL C
    .language_version:
      - 2
      - 0
    .max_flat_workgroup_size: 125
    .name:           fft_rtc_back_len625_factors_5_5_5_5_wgs_125_tpt_125_sp_op_CI_CI_sbrc_aligned_dirReg
    .private_segment_fixed_size: 0
    .sgpr_count:     45
    .sgpr_spill_count: 0
    .symbol:         fft_rtc_back_len625_factors_5_5_5_5_wgs_125_tpt_125_sp_op_CI_CI_sbrc_aligned_dirReg.kd
    .uniform_work_group_size: 1
    .uses_dynamic_stack: false
    .vgpr_count:     29
    .vgpr_spill_count: 0
    .wavefront_size: 64
amdhsa.target:   amdgcn-amd-amdhsa--gfx906
amdhsa.version:
  - 1
  - 2
...

	.end_amdgpu_metadata
